;; amdgpu-corpus repo=ROCm/rocFFT kind=compiled arch=gfx906 opt=O3
	.text
	.amdgcn_target "amdgcn-amd-amdhsa--gfx906"
	.amdhsa_code_object_version 6
	.protected	bluestein_single_fwd_len33_dim1_dp_op_CI_CI ; -- Begin function bluestein_single_fwd_len33_dim1_dp_op_CI_CI
	.globl	bluestein_single_fwd_len33_dim1_dp_op_CI_CI
	.p2align	8
	.type	bluestein_single_fwd_len33_dim1_dp_op_CI_CI,@function
bluestein_single_fwd_len33_dim1_dp_op_CI_CI: ; @bluestein_single_fwd_len33_dim1_dp_op_CI_CI
; %bb.0:
	v_mul_u32_u24_e32 v1, 0x1746, v0
	s_load_dwordx4 s[0:3], s[4:5], 0x28
	v_lshrrev_b32_e32 v1, 16, v1
	v_mad_u64_u32 v[76:77], s[6:7], s6, 23, v[1:2]
	v_mov_b32_e32 v77, 0
	s_waitcnt lgkmcnt(0)
	v_cmp_gt_u64_e32 vcc, s[0:1], v[76:77]
	s_and_saveexec_b64 s[0:1], vcc
	s_cbranch_execz .LBB0_15
; %bb.1:
	s_mov_b32 s0, 0xb21642c9
	v_mul_hi_u32 v2, v76, s0
	s_load_dwordx2 s[12:13], s[4:5], 0x0
	s_load_dwordx2 s[6:7], s[4:5], 0x38
	v_mul_lo_u16_e32 v1, 11, v1
	v_sub_u16_e32 v138, v0, v1
	v_lshrrev_b32_e32 v2, 4, v2
	v_mul_lo_u32 v2, v2, 23
	v_cmp_gt_u16_e32 vcc, 3, v138
	v_lshlrev_b32_e32 v140, 4, v138
	v_or_b32_e32 v139, 12, v138
	v_sub_u32_e32 v0, v76, v2
	v_mul_u32_u24_e32 v141, 33, v0
	v_lshlrev_b32_e32 v142, 4, v141
	v_or_b32_e32 v137, 24, v138
	s_and_saveexec_b64 s[14:15], vcc
	s_cbranch_execz .LBB0_3
; %bb.2:
	s_load_dwordx2 s[0:1], s[4:5], 0x18
	v_mov_b32_e32 v8, s3
	v_mov_b32_e32 v70, 0x60
	s_waitcnt lgkmcnt(0)
	s_load_dwordx4 s[8:11], s[0:1], 0x0
	s_waitcnt lgkmcnt(0)
	v_mad_u64_u32 v[0:1], s[0:1], s10, v76, 0
	v_mad_u64_u32 v[2:3], s[0:1], s8, v138, 0
	s_mul_i32 s3, s8, 48
	s_mul_i32 s10, s9, 0x60
	v_mad_u64_u32 v[4:5], s[0:1], s11, v76, v[1:2]
	v_mad_u64_u32 v[5:6], s[0:1], s9, v138, v[3:4]
	v_mov_b32_e32 v1, v4
	v_mad_u64_u32 v[6:7], s[0:1], s8, v139, 0
	v_lshlrev_b64 v[0:1], 4, v[0:1]
	v_mov_b32_e32 v3, v5
	v_lshlrev_b64 v[2:3], 4, v[2:3]
	v_add_co_u32_e64 v68, s[0:1], s2, v0
	v_addc_co_u32_e64 v69, s[0:1], v8, v1, s[0:1]
	v_add_co_u32_e64 v28, s[0:1], v68, v2
	v_mov_b32_e32 v0, v7
	v_addc_co_u32_e64 v29, s[0:1], v69, v3, s[0:1]
	v_mad_u64_u32 v[0:1], s[0:1], s9, v139, v[0:1]
	s_mul_i32 s2, s9, 48
	s_mul_hi_u32 s0, s8, 48
	v_mov_b32_e32 v7, v0
	v_lshlrev_b64 v[0:1], 4, v[6:7]
	s_add_i32 s2, s0, s2
	v_add_co_u32_e64 v0, s[0:1], v68, v0
	v_addc_co_u32_e64 v1, s[0:1], v69, v1, s[0:1]
	v_mov_b32_e32 v4, s2
	v_add_co_u32_e64 v30, s[0:1], s3, v28
	v_addc_co_u32_e64 v31, s[0:1], v29, v4, s[0:1]
	global_load_dwordx4 v[0:3], v[0:1], off
	s_nop 0
	global_load_dwordx4 v[4:7], v140, s[12:13]
	global_load_dwordx4 v[8:11], v140, s[12:13] offset:48
	global_load_dwordx4 v[12:15], v[28:29], off
	global_load_dwordx4 v[16:19], v[30:31], off
	global_load_dwordx4 v[20:23], v140, s[12:13] offset:192
	global_load_dwordx4 v[24:27], v140, s[12:13] offset:240
	v_mov_b32_e32 v28, s2
	v_add_co_u32_e64 v44, s[0:1], s3, v30
	v_addc_co_u32_e64 v45, s[0:1], v31, v28, s[0:1]
	v_mov_b32_e32 v36, s2
	v_add_co_u32_e64 v46, s[0:1], s3, v44
	v_addc_co_u32_e64 v47, s[0:1], v45, v36, s[0:1]
	v_mad_u64_u32 v[48:49], s[0:1], s8, v70, v[46:47]
	v_mov_b32_e32 v50, s2
	v_mov_b32_e32 v63, s2
	v_add_u32_e32 v49, s10, v49
	v_add_co_u32_e64 v60, s[0:1], s3, v48
	v_addc_co_u32_e64 v61, s[0:1], v49, v50, s[0:1]
	v_mad_u64_u32 v[64:65], s[0:1], s8, v137, 0
	global_load_dwordx4 v[28:31], v140, s[12:13] offset:96
	global_load_dwordx4 v[32:35], v140, s[12:13] offset:144
	global_load_dwordx4 v[36:39], v[44:45], off
	global_load_dwordx4 v[40:43], v[46:47], off
	v_mov_b32_e32 v62, v65
	v_mad_u64_u32 v[65:66], s[0:1], s9, v137, v[62:63]
	global_load_dwordx4 v[44:47], v[48:49], off
	v_add_co_u32_e64 v66, s[0:1], s3, v60
	global_load_dwordx4 v[48:51], v[60:61], off
	v_lshlrev_b64 v[64:65], 4, v[64:65]
	global_load_dwordx4 v[52:55], v140, s[12:13] offset:288
	global_load_dwordx4 v[56:59], v140, s[12:13] offset:336
	v_addc_co_u32_e64 v67, s[0:1], v61, v63, s[0:1]
	v_add_co_u32_e64 v77, s[0:1], v68, v64
	v_addc_co_u32_e64 v78, s[0:1], v69, v65, s[0:1]
	v_mad_u64_u32 v[81:82], s[0:1], s8, v70, v[66:67]
	global_load_dwordx4 v[60:63], v[66:67], off
	v_mov_b32_e32 v83, s2
	v_add_u32_e32 v82, s10, v82
	v_add_co_u32_e64 v89, s[0:1], s3, v81
	v_addc_co_u32_e64 v90, s[0:1], v82, v83, s[0:1]
	global_load_dwordx4 v[64:67], v[77:78], off
	global_load_dwordx4 v[68:71], v140, s[12:13] offset:384
	global_load_dwordx4 v[72:75], v140, s[12:13] offset:432
	s_waitcnt vmcnt(14)
	v_mul_f64 v[93:94], v[18:19], v[10:11]
	global_load_dwordx4 v[77:80], v[81:82], off
	s_nop 0
	global_load_dwordx4 v[81:84], v[89:90], off
	global_load_dwordx4 v[85:88], v140, s[12:13] offset:480
	v_mul_f64 v[89:90], v[14:15], v[6:7]
	v_mul_f64 v[6:7], v[12:13], v[6:7]
	s_waitcnt vmcnt(16)
	v_mul_f64 v[91:92], v[2:3], v[22:23]
	v_mul_f64 v[22:23], v[0:1], v[22:23]
	;; [unrolled: 1-line block ×3, first 2 shown]
	v_fma_f64 v[10:11], v[12:13], v[4:5], v[89:90]
	v_fma_f64 v[12:13], v[14:15], v[4:5], -v[6:7]
	v_fma_f64 v[0:1], v[0:1], v[20:21], v[91:92]
	v_fma_f64 v[2:3], v[2:3], v[20:21], -v[22:23]
	;; [unrolled: 2-line block ×3, first 2 shown]
	s_waitcnt vmcnt(12)
	v_mul_f64 v[8:9], v[38:39], v[30:31]
	s_waitcnt vmcnt(11)
	v_mul_f64 v[18:19], v[42:43], v[34:35]
	v_mul_f64 v[20:21], v[40:41], v[34:35]
	v_mul_f64 v[16:17], v[36:37], v[30:31]
	s_waitcnt vmcnt(10)
	v_mul_f64 v[22:23], v[46:47], v[26:27]
	v_mul_f64 v[26:27], v[44:45], v[26:27]
	v_fma_f64 v[14:15], v[36:37], v[28:29], v[8:9]
	s_waitcnt vmcnt(8)
	v_mul_f64 v[34:35], v[48:49], v[54:55]
	v_mul_f64 v[30:31], v[50:51], v[54:55]
	v_fma_f64 v[18:19], v[40:41], v[32:33], v[18:19]
	v_fma_f64 v[20:21], v[42:43], v[32:33], -v[20:21]
	v_fma_f64 v[16:17], v[38:39], v[28:29], -v[16:17]
	v_fma_f64 v[22:23], v[44:45], v[24:25], v[22:23]
	v_fma_f64 v[24:25], v[46:47], v[24:25], -v[26:27]
	v_fma_f64 v[28:29], v[50:51], v[52:53], -v[34:35]
	v_fma_f64 v[26:27], v[48:49], v[52:53], v[30:31]
	s_waitcnt vmcnt(6)
	v_mul_f64 v[8:9], v[62:63], v[58:59]
	v_mul_f64 v[32:33], v[60:61], v[58:59]
	s_waitcnt vmcnt(4)
	v_mul_f64 v[34:35], v[66:67], v[70:71]
	v_mul_f64 v[36:37], v[64:65], v[70:71]
	v_fma_f64 v[30:31], v[60:61], v[56:57], v[8:9]
	v_fma_f64 v[32:33], v[62:63], v[56:57], -v[32:33]
	v_lshl_add_u32 v8, v138, 4, v142
	ds_write_b128 v8, v[10:13]
	v_add_u32_e32 v8, v142, v140
	v_fma_f64 v[34:35], v[64:65], v[68:69], v[34:35]
	v_fma_f64 v[36:37], v[66:67], v[68:69], -v[36:37]
	s_waitcnt vmcnt(2)
	v_mul_f64 v[38:39], v[79:80], v[74:75]
	v_mul_f64 v[40:41], v[77:78], v[74:75]
	s_waitcnt vmcnt(0)
	v_mul_f64 v[42:43], v[83:84], v[87:88]
	v_mul_f64 v[44:45], v[81:82], v[87:88]
	v_fma_f64 v[38:39], v[77:78], v[72:73], v[38:39]
	v_fma_f64 v[40:41], v[79:80], v[72:73], -v[40:41]
	v_fma_f64 v[42:43], v[81:82], v[85:86], v[42:43]
	v_fma_f64 v[44:45], v[83:84], v[85:86], -v[44:45]
	ds_write_b128 v8, v[4:7] offset:48
	ds_write_b128 v8, v[14:17] offset:96
	ds_write_b128 v8, v[18:21] offset:144
	ds_write_b128 v8, v[0:3] offset:192
	ds_write_b128 v8, v[22:25] offset:240
	ds_write_b128 v8, v[26:29] offset:288
	ds_write_b128 v8, v[30:33] offset:336
	ds_write_b128 v8, v[34:37] offset:384
	ds_write_b128 v8, v[38:41] offset:432
	ds_write_b128 v8, v[42:45] offset:480
.LBB0_3:
	s_or_b64 exec, exec, s[14:15]
	s_load_dwordx2 s[0:1], s[4:5], 0x20
	s_load_dwordx2 s[8:9], s[4:5], 0x8
	s_waitcnt lgkmcnt(0)
	s_barrier
	s_waitcnt lgkmcnt(0)
                                        ; implicit-def: $vgpr58_vgpr59
                                        ; implicit-def: $vgpr54_vgpr55
                                        ; implicit-def: $vgpr50_vgpr51
                                        ; implicit-def: $vgpr46_vgpr47
                                        ; implicit-def: $vgpr42_vgpr43
                                        ; implicit-def: $vgpr38_vgpr39
                                        ; implicit-def: $vgpr34_vgpr35
                                        ; implicit-def: $vgpr60_vgpr61
                                        ; implicit-def: $vgpr64_vgpr65
                                        ; implicit-def: $vgpr68_vgpr69
                                        ; implicit-def: $vgpr72_vgpr73
	s_and_saveexec_b64 s[2:3], vcc
	s_cbranch_execz .LBB0_5
; %bb.4:
	v_lshl_add_u32 v0, v141, 4, v140
	ds_read_b128 v[32:35], v0
	ds_read_b128 v[36:39], v0 offset:48
	ds_read_b128 v[40:43], v0 offset:96
	;; [unrolled: 1-line block ×10, first 2 shown]
.LBB0_5:
	s_or_b64 exec, exec, s[2:3]
	s_waitcnt lgkmcnt(0)
	v_add_f64 v[16:17], v[38:39], -v[74:75]
	s_mov_b32 s24, 0xf8bb580b
	s_mov_b32 s25, 0xbfe14ced
	v_add_f64 v[77:78], v[36:37], v[72:73]
	v_add_f64 v[20:21], v[42:43], -v[70:71]
	s_mov_b32 s2, 0x8764f0ba
	s_mov_b32 s18, 0x8eee2c13
	;; [unrolled: 1-line block ×3, first 2 shown]
	v_mul_f64 v[79:80], v[16:17], s[24:25]
	s_mov_b32 s19, 0xbfed1bb4
	v_add_f64 v[87:88], v[40:41], v[68:69]
	v_add_f64 v[24:25], v[46:47], -v[66:67]
	v_mul_f64 v[81:82], v[20:21], s[18:19]
	s_mov_b32 s4, 0xd9c712b6
	s_mov_b32 s16, 0x43842ef
	;; [unrolled: 1-line block ×3, first 2 shown]
	v_fma_f64 v[0:1], v[77:78], s[2:3], v[79:80]
	s_mov_b32 s17, 0xbfefac9e
	v_add_f64 v[18:19], v[36:37], -v[72:73]
	v_add_f64 v[95:96], v[44:45], v[64:65]
	v_fma_f64 v[4:5], v[87:88], s[4:5], v[81:82]
	v_mul_f64 v[91:92], v[24:25], s[16:17]
	v_add_f64 v[28:29], v[50:51], -v[62:63]
	s_mov_b32 s10, 0x640f44db
	v_add_f64 v[0:1], v[32:33], v[0:1]
	s_mov_b32 s28, 0xbb3a28a1
	s_mov_b32 s11, 0xbfc2375f
	;; [unrolled: 1-line block ×3, first 2 shown]
	v_add_f64 v[99:100], v[38:39], v[74:75]
	v_mul_f64 v[83:84], v[18:19], s[24:25]
	v_add_f64 v[22:23], v[40:41], -v[68:69]
	v_add_f64 v[105:106], v[48:49], v[60:61]
	v_add_f64 v[0:1], v[4:5], v[0:1]
	v_fma_f64 v[4:5], v[95:96], s[10:11], v[91:92]
	v_mul_f64 v[101:102], v[28:29], s[28:29]
	v_mul_f64 v[113:114], v[16:17], s[18:19]
	s_mov_b32 s14, 0x7f775887
	s_mov_b32 s15, 0xbfe4f49e
	v_add_f64 v[89:90], v[42:43], v[70:71]
	v_fma_f64 v[2:3], v[99:100], s[2:3], -v[83:84]
	v_mul_f64 v[85:86], v[22:23], s[18:19]
	v_add_f64 v[26:27], v[44:45], -v[64:65]
	v_add_f64 v[0:1], v[4:5], v[0:1]
	v_fma_f64 v[4:5], v[105:106], s[14:15], v[101:102]
	v_fma_f64 v[8:9], v[77:78], s[4:5], v[113:114]
	v_mul_f64 v[115:116], v[20:21], s[28:29]
	v_add_f64 v[97:98], v[46:47], v[66:67]
	v_add_f64 v[2:3], v[34:35], v[2:3]
	v_fma_f64 v[6:7], v[89:90], s[4:5], -v[85:86]
	v_mul_f64 v[93:94], v[26:27], s[16:17]
	v_add_f64 v[30:31], v[48:49], -v[60:61]
	v_mul_f64 v[123:124], v[18:19], s[18:19]
	v_add_f64 v[0:1], v[4:5], v[0:1]
	v_add_f64 v[4:5], v[32:33], v[8:9]
	v_fma_f64 v[8:9], v[87:88], s[14:15], v[115:116]
	v_add_f64 v[107:108], v[50:51], v[62:63]
	v_add_f64 v[2:3], v[6:7], v[2:3]
	v_fma_f64 v[6:7], v[97:98], s[10:11], -v[93:94]
	v_mul_f64 v[103:104], v[30:31], s[28:29]
	v_add_f64 v[143:144], v[56:57], v[52:53]
	v_fma_f64 v[10:11], v[99:100], s[4:5], -v[123:124]
	v_mul_f64 v[125:126], v[22:23], s[28:29]
	v_add_f64 v[4:5], v[8:9], v[4:5]
	v_mul_f64 v[8:9], v[16:17], s[16:17]
	s_mov_b32 s22, 0xfd768dbf
	s_mov_b32 s20, 0x9bcd5057
	;; [unrolled: 1-line block ×6, first 2 shown]
	v_add_f64 v[2:3], v[6:7], v[2:3]
	v_fma_f64 v[6:7], v[107:108], s[14:15], -v[103:104]
	v_add_f64 v[117:118], v[54:55], -v[58:59]
	v_mul_f64 v[109:110], v[143:144], s[20:21]
	v_add_f64 v[10:11], v[34:35], v[10:11]
	v_fma_f64 v[12:13], v[89:90], s[14:15], -v[125:126]
	v_mul_f64 v[119:120], v[24:25], s[26:27]
	v_mul_f64 v[129:130], v[26:27], s[26:27]
	v_fma_f64 v[135:136], v[77:78], s[10:11], -v[8:9]
	v_mul_f64 v[147:148], v[20:21], s[26:27]
	s_mov_b32 s31, 0x3fefac9e
	s_mov_b32 s30, s16
	;; [unrolled: 1-line block ×4, first 2 shown]
	v_add_f64 v[145:146], v[52:53], -v[56:57]
	v_add_f64 v[2:3], v[6:7], v[2:3]
	v_fma_f64 v[6:7], v[117:118], s[22:23], v[109:110]
	v_add_f64 v[10:11], v[12:13], v[10:11]
	v_fma_f64 v[12:13], v[95:96], s[20:21], v[119:120]
	v_fma_f64 v[131:132], v[97:98], s[20:21], -v[129:130]
	v_mul_f64 v[127:128], v[28:29], s[30:31]
	v_mul_f64 v[149:150], v[18:19], s[16:17]
	v_add_f64 v[151:152], v[32:33], v[135:136]
	v_fma_f64 v[153:154], v[87:88], s[20:21], -v[147:148]
	v_mul_f64 v[159:160], v[24:25], s[34:35]
	v_add_f64 v[121:122], v[58:59], v[54:55]
	v_mul_f64 v[111:112], v[145:146], s[22:23]
	v_mul_f64 v[133:134], v[30:31], s[30:31]
	v_add_f64 v[0:1], v[6:7], v[0:1]
	v_add_f64 v[4:5], v[12:13], v[4:5]
	;; [unrolled: 1-line block ×3, first 2 shown]
	v_fma_f64 v[10:11], v[105:106], s[10:11], v[127:128]
	v_fma_f64 v[155:156], v[99:100], s[10:11], v[149:150]
	v_mul_f64 v[157:158], v[22:23], s[26:27]
	v_mul_f64 v[131:132], v[143:144], s[2:3]
	v_add_f64 v[151:152], v[153:154], v[151:152]
	v_fma_f64 v[161:162], v[95:96], s[4:5], -v[159:160]
	v_mul_f64 v[165:166], v[28:29], s[24:25]
	s_mov_b32 s27, 0x3fe14ced
	s_mov_b32 s26, s24
	v_fma_f64 v[14:15], v[121:122], s[20:21], -v[111:112]
	v_fma_f64 v[12:13], v[107:108], s[10:11], -v[133:134]
	v_mul_f64 v[135:136], v[145:146], s[26:27]
	v_add_f64 v[153:154], v[34:35], v[155:156]
	v_fma_f64 v[155:156], v[89:90], s[20:21], v[157:158]
	v_mul_f64 v[163:164], v[26:27], s[34:35]
	v_add_f64 v[4:5], v[10:11], v[4:5]
	v_fma_f64 v[10:11], v[117:118], s[26:27], v[131:132]
	v_add_f64 v[151:152], v[161:162], v[151:152]
	v_fma_f64 v[161:162], v[105:106], s[2:3], -v[165:166]
	v_fma_f64 v[8:9], v[77:78], s[10:11], v[8:9]
	v_add_f64 v[6:7], v[12:13], v[6:7]
	v_fma_f64 v[12:13], v[121:122], s[2:3], -v[135:136]
	v_add_f64 v[153:154], v[155:156], v[153:154]
	v_fma_f64 v[155:156], v[97:98], s[4:5], v[163:164]
	v_add_f64 v[2:3], v[14:15], v[2:3]
	v_add_f64 v[4:5], v[10:11], v[4:5]
	v_mul_f64 v[10:11], v[30:31], s[24:25]
	v_fma_f64 v[14:15], v[99:100], s[10:11], -v[149:150]
	v_add_f64 v[149:150], v[161:162], v[151:152]
	v_mul_f64 v[151:152], v[143:144], s[14:15]
	v_add_f64 v[8:9], v[32:33], v[8:9]
	v_fma_f64 v[147:148], v[87:88], s[20:21], v[147:148]
	s_mov_b32 s37, 0x3fe82f19
	s_mov_b32 s36, s28
	v_add_f64 v[6:7], v[12:13], v[6:7]
	v_add_f64 v[12:13], v[155:156], v[153:154]
	v_fma_f64 v[153:154], v[107:108], s[2:3], v[10:11]
	v_add_f64 v[14:15], v[34:35], v[14:15]
	v_fma_f64 v[155:156], v[89:90], s[20:21], -v[157:158]
	v_fma_f64 v[157:158], v[117:118], s[36:37], v[151:152]
	v_mul_f64 v[161:162], v[145:146], s[28:29]
	v_add_f64 v[147:148], v[147:148], v[8:9]
	v_fma_f64 v[159:160], v[95:96], s[4:5], v[159:160]
	v_mul_f64 v[167:168], v[16:17], s[28:29]
	v_add_f64 v[12:13], v[153:154], v[12:13]
	v_mul_f64 v[169:170], v[22:23], s[30:31]
	v_add_f64 v[14:15], v[155:156], v[14:15]
	v_fma_f64 v[155:156], v[97:98], s[4:5], -v[163:164]
	v_add_f64 v[8:9], v[157:158], v[149:150]
	v_mul_f64 v[149:150], v[18:19], s[28:29]
	v_fma_f64 v[153:154], v[121:122], s[14:15], v[161:162]
	v_add_f64 v[147:148], v[159:160], v[147:148]
	v_fma_f64 v[157:158], v[77:78], s[14:15], -v[167:168]
	v_mul_f64 v[159:160], v[20:21], s[30:31]
	v_fma_f64 v[163:164], v[107:108], s[2:3], -v[10:11]
	v_add_f64 v[14:15], v[155:156], v[14:15]
	v_fma_f64 v[155:156], v[105:106], s[2:3], v[165:166]
	v_fma_f64 v[165:166], v[99:100], s[14:15], v[149:150]
	v_add_f64 v[10:11], v[153:154], v[12:13]
	v_fma_f64 v[167:168], v[77:78], s[14:15], v[167:168]
	v_add_f64 v[12:13], v[32:33], v[157:158]
	v_fma_f64 v[153:154], v[87:88], s[10:11], -v[159:160]
	v_mul_f64 v[157:158], v[24:25], s[24:25]
	v_fma_f64 v[149:150], v[99:100], s[14:15], -v[149:150]
	v_add_f64 v[147:148], v[155:156], v[147:148]
	v_add_f64 v[14:15], v[163:164], v[14:15]
	;; [unrolled: 1-line block ×3, first 2 shown]
	v_fma_f64 v[163:164], v[89:90], s[10:11], v[169:170]
	v_mul_f64 v[165:166], v[26:27], s[24:25]
	v_fma_f64 v[151:152], v[117:118], s[28:29], v[151:152]
	v_add_f64 v[12:13], v[153:154], v[12:13]
	v_fma_f64 v[153:154], v[95:96], s[2:3], -v[157:158]
	v_add_f64 v[167:168], v[32:33], v[167:168]
	v_fma_f64 v[159:160], v[87:88], s[10:11], v[159:160]
	v_add_f64 v[149:150], v[34:35], v[149:150]
	v_fma_f64 v[169:170], v[89:90], s[10:11], -v[169:170]
	v_mul_f64 v[171:172], v[28:29], s[22:23]
	v_mul_f64 v[173:174], v[30:31], s[22:23]
	;; [unrolled: 1-line block ×3, first 2 shown]
	v_add_f64 v[153:154], v[153:154], v[12:13]
	v_add_f64 v[12:13], v[151:152], v[147:148]
	;; [unrolled: 1-line block ×3, first 2 shown]
	v_fma_f64 v[151:152], v[95:96], s[2:3], v[157:158]
	v_add_f64 v[149:150], v[169:170], v[149:150]
	v_fma_f64 v[157:158], v[97:98], s[2:3], -v[165:166]
	v_mul_f64 v[18:19], v[18:19], s[22:23]
	v_add_f64 v[155:156], v[163:164], v[155:156]
	v_fma_f64 v[163:164], v[97:98], s[2:3], v[165:166]
	v_fma_f64 v[165:166], v[77:78], s[20:21], -v[16:17]
	v_mul_f64 v[20:21], v[20:21], s[26:27]
	v_add_f64 v[147:148], v[151:152], v[147:148]
	v_fma_f64 v[151:152], v[105:106], s[20:21], v[171:172]
	v_add_f64 v[149:150], v[157:158], v[149:150]
	v_fma_f64 v[157:158], v[107:108], s[20:21], -v[173:174]
	v_fma_f64 v[169:170], v[99:100], s[20:21], v[18:19]
	v_mul_f64 v[22:23], v[22:23], s[26:27]
	v_fma_f64 v[16:17], v[77:78], s[20:21], v[16:17]
	v_fma_f64 v[18:19], v[99:100], s[20:21], -v[18:19]
	v_mul_f64 v[24:25], v[24:25], s[28:29]
	v_add_f64 v[147:148], v[151:152], v[147:148]
	v_add_f64 v[151:152], v[32:33], v[165:166]
	;; [unrolled: 1-line block ×3, first 2 shown]
	v_fma_f64 v[157:158], v[87:88], s[2:3], -v[20:21]
	v_add_f64 v[165:166], v[34:35], v[169:170]
	v_fma_f64 v[169:170], v[89:90], s[2:3], v[22:23]
	v_mul_f64 v[26:27], v[26:27], s[28:29]
	v_add_f64 v[16:17], v[32:33], v[16:17]
	v_fma_f64 v[20:21], v[87:88], s[2:3], v[20:21]
	v_add_f64 v[18:19], v[34:35], v[18:19]
	v_fma_f64 v[22:23], v[89:90], s[2:3], -v[22:23]
	v_fma_f64 v[161:162], v[121:122], s[14:15], -v[161:162]
	v_add_f64 v[151:152], v[157:158], v[151:152]
	v_add_f64 v[157:158], v[169:170], v[165:166]
	v_fma_f64 v[165:166], v[95:96], s[14:15], -v[24:25]
	v_fma_f64 v[169:170], v[97:98], s[14:15], v[26:27]
	v_mul_f64 v[28:29], v[28:29], s[34:35]
	v_mul_f64 v[30:31], v[30:31], s[34:35]
	v_add_f64 v[16:17], v[20:21], v[16:17]
	v_add_f64 v[18:19], v[22:23], v[18:19]
	v_fma_f64 v[20:21], v[95:96], s[14:15], v[24:25]
	v_fma_f64 v[22:23], v[97:98], s[14:15], -v[26:27]
	v_add_f64 v[155:156], v[163:164], v[155:156]
	v_fma_f64 v[163:164], v[105:106], s[20:21], -v[171:172]
	v_fma_f64 v[175:176], v[107:108], s[20:21], v[173:174]
	v_add_f64 v[14:15], v[161:162], v[14:15]
	v_mul_f64 v[159:160], v[143:144], s[4:5]
	v_mul_f64 v[161:162], v[145:146], s[34:35]
	v_add_f64 v[24:25], v[165:166], v[151:152]
	v_add_f64 v[26:27], v[169:170], v[157:158]
	v_fma_f64 v[151:152], v[105:106], s[4:5], -v[28:29]
	v_fma_f64 v[157:158], v[107:108], s[4:5], v[30:31]
	v_mul_f64 v[143:144], v[143:144], s[10:11]
	v_mul_f64 v[145:146], v[145:146], s[16:17]
	v_add_f64 v[16:17], v[20:21], v[16:17]
	v_add_f64 v[18:19], v[22:23], v[18:19]
	v_fma_f64 v[20:21], v[105:106], s[4:5], v[28:29]
	v_fma_f64 v[22:23], v[107:108], s[4:5], -v[30:31]
	v_add_f64 v[153:154], v[163:164], v[153:154]
	v_add_f64 v[155:156], v[175:176], v[155:156]
	v_fma_f64 v[163:164], v[117:118], s[18:19], v[159:160]
	v_fma_f64 v[167:168], v[121:122], s[4:5], v[161:162]
	;; [unrolled: 1-line block ×3, first 2 shown]
	v_fma_f64 v[30:31], v[121:122], s[4:5], -v[161:162]
	v_add_f64 v[151:152], v[151:152], v[24:25]
	v_add_f64 v[157:158], v[157:158], v[26:27]
	v_fma_f64 v[159:160], v[117:118], s[30:31], v[143:144]
	v_fma_f64 v[161:162], v[121:122], s[10:11], v[145:146]
	v_add_f64 v[165:166], v[20:21], v[16:17]
	v_add_f64 v[169:170], v[22:23], v[18:19]
	v_fma_f64 v[143:144], v[117:118], s[16:17], v[143:144]
	v_fma_f64 v[145:146], v[121:122], s[10:11], -v[145:146]
	v_add_f64 v[16:17], v[163:164], v[153:154]
	v_add_f64 v[18:19], v[167:168], v[155:156]
	;; [unrolled: 1-line block ×8, first 2 shown]
	v_mul_lo_u16_e32 v143, 11, v138
	s_barrier
	s_and_saveexec_b64 s[16:17], vcc
	s_cbranch_execz .LBB0_7
; %bb.6:
	v_add_f64 v[38:39], v[38:39], v[34:35]
	v_add_f64 v[36:37], v[36:37], v[32:33]
	v_mul_f64 v[144:145], v[99:100], s[4:5]
	v_mul_f64 v[146:147], v[77:78], s[2:3]
	;; [unrolled: 1-line block ×6, first 2 shown]
	v_add_f64 v[38:39], v[42:43], v[38:39]
	v_add_f64 v[36:37], v[40:41], v[36:37]
	;; [unrolled: 1-line block ×3, first 2 shown]
	v_mul_f64 v[89:90], v[89:90], s[4:5]
	v_add_f64 v[83:84], v[83:84], v[99:100]
	v_add_f64 v[79:80], v[146:147], -v[79:80]
	v_mul_f64 v[87:88], v[87:88], s[14:15]
	v_mul_f64 v[152:153], v[97:98], s[20:21]
	v_add_f64 v[38:39], v[46:47], v[38:39]
	v_add_f64 v[36:37], v[44:45], v[36:37]
	;; [unrolled: 1-line block ×4, first 2 shown]
	v_mul_f64 v[144:145], v[95:96], s[10:11]
	v_mul_f64 v[42:43], v[97:98], s[10:11]
	v_add_f64 v[34:35], v[34:35], v[83:84]
	v_add_f64 v[81:82], v[148:149], -v[81:82]
	v_add_f64 v[38:39], v[50:51], v[38:39]
	v_add_f64 v[36:37], v[48:49], v[36:37]
	v_mul_f64 v[95:96], v[95:96], s[20:21]
	v_mul_f64 v[123:124], v[107:108], s[10:11]
	v_add_f64 v[129:130], v[129:130], v[152:153]
	v_add_f64 v[40:41], v[125:126], v[40:41]
	v_mul_f64 v[97:98], v[105:106], s[14:15]
	v_mul_f64 v[44:45], v[107:108], s[14:15]
	v_add_f64 v[38:39], v[54:55], v[38:39]
	v_add_f64 v[36:37], v[52:53], v[36:37]
	v_add_f64 v[52:53], v[77:78], -v[113:114]
	v_add_f64 v[77:78], v[85:86], v[89:90]
	v_add_f64 v[54:55], v[87:88], -v[115:116]
	v_add_f64 v[42:43], v[93:94], v[42:43]
	v_mul_f64 v[46:47], v[105:106], s[10:11]
	v_mul_f64 v[105:106], v[121:122], s[2:3]
	v_add_f64 v[38:39], v[58:59], v[38:39]
	v_add_f64 v[36:37], v[56:57], v[36:37]
	;; [unrolled: 1-line block ×5, first 2 shown]
	v_add_f64 v[58:59], v[144:145], -v[91:92]
	v_add_f64 v[52:53], v[95:96], -v[119:120]
	v_add_f64 v[123:124], v[133:134], v[123:124]
	v_add_f64 v[38:39], v[62:63], v[38:39]
	;; [unrolled: 1-line block ×6, first 2 shown]
	v_mul_f64 v[107:108], v[117:118], s[22:23]
	v_mul_f64 v[48:49], v[121:122], s[20:21]
	v_add_f64 v[44:45], v[103:104], v[44:45]
	v_add_f64 v[38:39], v[66:67], v[38:39]
	;; [unrolled: 1-line block ×4, first 2 shown]
	v_add_f64 v[42:43], v[97:98], -v[101:102]
	v_add_f64 v[54:55], v[58:59], v[56:57]
	v_mul_f64 v[50:51], v[117:118], s[26:27]
	v_add_f64 v[46:47], v[46:47], -v[127:128]
	v_add_f64 v[32:33], v[52:53], v[32:33]
	v_add_f64 v[105:106], v[105:106], v[135:136]
	v_add_f64 v[40:41], v[123:124], v[40:41]
	v_add_f64 v[56:57], v[70:71], v[38:39]
	v_add_f64 v[36:37], v[68:69], v[36:37]
	v_add_f64 v[48:49], v[48:49], v[111:112]
	v_add_f64 v[44:45], v[44:45], v[34:35]
	v_add_f64 v[52:53], v[109:110], -v[107:108]
	v_add_f64 v[54:55], v[42:43], v[54:55]
	v_add_f64 v[50:51], v[131:132], -v[50:51]
	v_add_f64 v[32:33], v[46:47], v[32:33]
	v_add_f64 v[34:35], v[105:106], v[40:41]
	;; [unrolled: 1-line block ×5, first 2 shown]
	v_add_lshl_u32 v44, v141, v143, 4
	v_add_f64 v[36:37], v[52:53], v[54:55]
	v_add_f64 v[32:33], v[50:51], v[32:33]
	ds_write_b128 v44, v[40:43]
	ds_write_b128 v44, v[36:39] offset:16
	ds_write_b128 v44, v[32:35] offset:32
	;; [unrolled: 1-line block ×10, first 2 shown]
.LBB0_7:
	s_or_b64 exec, exec, s[16:17]
	v_lshlrev_b32_e32 v40, 5, v138
	s_load_dwordx4 s[0:3], s[0:1], 0x0
	s_waitcnt lgkmcnt(0)
	s_barrier
	global_load_dwordx4 v[36:39], v40, s[8:9]
	global_load_dwordx4 v[32:35], v40, s[8:9] offset:16
	v_add_lshl_u32 v73, v141, v138, 4
	ds_read_b128 v[40:43], v73 offset:176
	ds_read_b128 v[44:47], v73 offset:352
	s_mov_b32 s4, 0xe8584caa
	s_mov_b32 s5, 0x3febb67a
	;; [unrolled: 1-line block ×4, first 2 shown]
	v_lshl_add_u32 v72, v138, 4, v142
	s_waitcnt vmcnt(1) lgkmcnt(1)
	v_mul_f64 v[48:49], v[42:43], v[38:39]
	v_mul_f64 v[50:51], v[40:41], v[38:39]
	s_waitcnt vmcnt(0) lgkmcnt(0)
	v_mul_f64 v[52:53], v[46:47], v[34:35]
	v_mul_f64 v[54:55], v[44:45], v[34:35]
	v_fma_f64 v[48:49], v[40:41], v[36:37], -v[48:49]
	v_fma_f64 v[50:51], v[42:43], v[36:37], v[50:51]
	v_fma_f64 v[44:45], v[44:45], v[32:33], -v[52:53]
	v_fma_f64 v[46:47], v[46:47], v[32:33], v[54:55]
	ds_read_b128 v[40:43], v73
	s_waitcnt lgkmcnt(0)
	v_add_f64 v[56:57], v[40:41], v[48:49]
	v_add_f64 v[52:53], v[48:49], v[44:45]
	;; [unrolled: 1-line block ×3, first 2 shown]
	v_add_f64 v[58:59], v[50:51], -v[46:47]
	v_add_f64 v[50:51], v[42:43], v[50:51]
	v_add_f64 v[60:61], v[48:49], -v[44:45]
	v_fma_f64 v[52:53], v[52:53], -0.5, v[40:41]
	v_fma_f64 v[54:55], v[54:55], -0.5, v[42:43]
	v_add_f64 v[40:41], v[56:57], v[44:45]
	v_add_f64 v[42:43], v[50:51], v[46:47]
	v_fma_f64 v[48:49], v[58:59], s[4:5], v[52:53]
	v_fma_f64 v[44:45], v[58:59], s[8:9], v[52:53]
	;; [unrolled: 1-line block ×4, first 2 shown]
	ds_write_b128 v72, v[40:43]
	ds_write_b128 v72, v[48:51] offset:176
	ds_write_b128 v72, v[44:47] offset:352
	s_waitcnt lgkmcnt(0)
	s_barrier
	s_and_saveexec_b64 s[4:5], vcc
	s_cbranch_execz .LBB0_9
; %bb.8:
	global_load_dwordx4 v[52:55], v140, s[12:13] offset:528
	s_add_u32 s8, s12, 0x210
	s_addc_u32 s9, s13, 0
	global_load_dwordx4 v[56:59], v140, s[8:9] offset:48
	global_load_dwordx4 v[60:63], v140, s[8:9] offset:96
	global_load_dwordx4 v[64:67], v140, s[8:9] offset:144
	global_load_dwordx4 v[68:71], v140, s[8:9] offset:192
	global_load_dwordx4 v[77:80], v140, s[8:9] offset:240
	global_load_dwordx4 v[81:84], v140, s[8:9] offset:288
	global_load_dwordx4 v[85:88], v140, s[8:9] offset:336
	global_load_dwordx4 v[89:92], v140, s[8:9] offset:384
	global_load_dwordx4 v[93:96], v140, s[8:9] offset:432
	global_load_dwordx4 v[97:100], v140, s[8:9] offset:480
	ds_read_b128 v[101:104], v72
	ds_read_b128 v[105:108], v72 offset:48
	ds_read_b128 v[109:112], v72 offset:96
	;; [unrolled: 1-line block ×10, first 2 shown]
	s_waitcnt vmcnt(9) lgkmcnt(9)
	v_mul_f64 v[152:153], v[107:108], v[58:59]
	v_mul_f64 v[58:59], v[105:106], v[58:59]
	s_waitcnt vmcnt(8) lgkmcnt(8)
	v_mul_f64 v[154:155], v[111:112], v[62:63]
	v_mul_f64 v[62:63], v[109:110], v[62:63]
	;; [unrolled: 3-line block ×3, first 2 shown]
	v_mul_f64 v[74:75], v[103:104], v[54:55]
	v_mul_f64 v[54:55], v[101:102], v[54:55]
	s_waitcnt vmcnt(6) lgkmcnt(6)
	v_mul_f64 v[158:159], v[119:120], v[70:71]
	v_mul_f64 v[70:71], v[117:118], v[70:71]
	s_waitcnt vmcnt(5) lgkmcnt(5)
	;; [unrolled: 3-line block ×7, first 2 shown]
	v_mul_f64 v[170:171], v[150:151], v[99:100]
	v_mul_f64 v[172:173], v[148:149], v[99:100]
	v_fma_f64 v[99:100], v[101:102], v[52:53], -v[74:75]
	v_fma_f64 v[101:102], v[103:104], v[52:53], v[54:55]
	v_fma_f64 v[52:53], v[105:106], v[56:57], -v[152:153]
	v_fma_f64 v[54:55], v[107:108], v[56:57], v[58:59]
	;; [unrolled: 2-line block ×11, first 2 shown]
	ds_write_b128 v72, v[99:102]
	ds_write_b128 v72, v[52:55] offset:48
	ds_write_b128 v72, v[56:59] offset:96
	;; [unrolled: 1-line block ×10, first 2 shown]
.LBB0_9:
	s_or_b64 exec, exec, s[4:5]
	s_waitcnt lgkmcnt(0)
	s_barrier
	s_and_saveexec_b64 s[4:5], vcc
	s_cbranch_execz .LBB0_11
; %bb.10:
	ds_read_b128 v[40:43], v72
	ds_read_b128 v[48:51], v72 offset:48
	ds_read_b128 v[44:47], v72 offset:96
	;; [unrolled: 1-line block ×10, first 2 shown]
.LBB0_11:
	s_or_b64 exec, exec, s[4:5]
	s_waitcnt lgkmcnt(0)
	s_barrier
	s_and_saveexec_b64 s[4:5], vcc
	s_cbranch_execz .LBB0_13
; %bb.12:
	v_add_f64 v[74:75], v[48:49], -v[0:1]
	s_mov_b32 s16, 0xfd768dbf
	s_mov_b32 s17, 0xbfd207e7
	v_add_f64 v[70:71], v[44:45], -v[4:5]
	v_add_f64 v[68:69], v[50:51], v[2:3]
	s_mov_b32 s22, 0xf8bb580b
	s_mov_b32 s18, 0x9bcd5057
	s_mov_b32 s23, 0x3fe14ced
	v_mul_f64 v[81:82], v[74:75], s[16:17]
	s_mov_b32 s19, 0xbfeeb42a
	v_add_f64 v[64:65], v[8:9], -v[12:13]
	v_mul_f64 v[83:84], v[70:71], s[22:23]
	v_add_f64 v[66:67], v[46:47], v[6:7]
	v_add_f64 v[97:98], v[50:51], -v[2:3]
	s_mov_b32 s20, 0xbb3a28a1
	s_mov_b32 s26, 0x8764f0ba
	v_fma_f64 v[85:86], v[68:69], s[18:19], v[81:82]
	s_mov_b32 s21, 0xbfe82f19
	s_mov_b32 s27, 0x3feaeb8c
	v_add_f64 v[62:63], v[16:17], -v[24:25]
	v_mul_f64 v[79:80], v[64:65], s[20:21]
	v_add_f64 v[99:100], v[10:11], v[14:15]
	v_fma_f64 v[87:88], v[66:67], s[26:27], v[83:84]
	v_add_f64 v[101:102], v[46:47], -v[6:7]
	v_add_f64 v[103:104], v[48:49], v[0:1]
	v_mul_f64 v[89:90], v[97:98], s[16:17]
	v_add_f64 v[85:86], v[42:43], v[85:86]
	s_mov_b32 s36, 0x8eee2c13
	s_mov_b32 s24, 0x7f775887
	;; [unrolled: 1-line block ×4, first 2 shown]
	v_add_f64 v[60:61], v[20:21], -v[28:29]
	v_add_f64 v[58:59], v[18:19], v[26:27]
	v_mul_f64 v[77:78], v[62:63], s[36:37]
	v_fma_f64 v[91:92], v[99:100], s[24:25], v[79:80]
	v_add_f64 v[105:106], v[10:11], -v[14:15]
	v_add_f64 v[107:108], v[44:45], v[4:5]
	v_mul_f64 v[93:94], v[101:102], s[22:23]
	v_fma_f64 v[95:96], v[103:104], s[18:19], -v[89:90]
	v_add_f64 v[85:86], v[87:88], v[85:86]
	s_mov_b32 s10, 0x43842ef
	s_mov_b32 s14, 0xd9c712b6
	;; [unrolled: 1-line block ×4, first 2 shown]
	v_add_f64 v[56:57], v[30:31], v[22:23]
	v_mul_f64 v[52:53], v[60:61], s[10:11]
	v_fma_f64 v[87:88], v[58:59], s[14:15], v[77:78]
	v_add_f64 v[109:110], v[18:19], -v[26:27]
	v_add_f64 v[111:112], v[8:9], v[12:13]
	v_fma_f64 v[81:82], v[68:69], s[18:19], -v[81:82]
	v_mul_f64 v[113:114], v[105:106], s[20:21]
	v_fma_f64 v[115:116], v[107:108], s[26:27], -v[93:94]
	v_add_f64 v[95:96], v[40:41], v[95:96]
	v_add_f64 v[85:86], v[91:92], v[85:86]
	s_mov_b32 s8, 0x640f44db
	s_mov_b32 s9, 0xbfc2375f
	v_fma_f64 v[54:55], v[56:57], s[8:9], v[52:53]
	v_add_f64 v[119:120], v[16:17], v[24:25]
	v_fma_f64 v[83:84], v[66:67], s[26:27], -v[83:84]
	v_add_f64 v[81:82], v[42:43], v[81:82]
	v_mul_f64 v[91:92], v[109:110], s[36:37]
	v_fma_f64 v[121:122], v[111:112], s[24:25], -v[113:114]
	v_add_f64 v[95:96], v[115:116], v[95:96]
	v_add_f64 v[85:86], v[87:88], v[85:86]
	v_fma_f64 v[79:80], v[99:100], s[24:25], -v[79:80]
	v_fma_f64 v[77:78], v[58:59], s[14:15], -v[77:78]
	s_mov_b32 s39, 0x3fefac9e
	v_add_f64 v[81:82], v[83:84], v[81:82]
	v_fma_f64 v[83:84], v[119:120], s[14:15], -v[91:92]
	s_mov_b32 s38, s10
	v_add_f64 v[95:96], v[121:122], v[95:96]
	v_add_f64 v[54:55], v[54:55], v[85:86]
	v_fma_f64 v[85:86], v[103:104], s[18:19], v[89:90]
	v_fma_f64 v[89:90], v[56:57], s[8:9], -v[52:53]
	v_fma_f64 v[52:53], v[107:108], s[26:27], v[93:94]
	v_add_f64 v[79:80], v[79:80], v[81:82]
	v_mul_f64 v[93:94], v[74:75], s[20:21]
	v_mul_f64 v[123:124], v[101:102], s[38:39]
	v_add_f64 v[83:84], v[83:84], v[95:96]
	v_mul_f64 v[95:96], v[97:98], s[20:21]
	v_add_f64 v[85:86], v[40:41], v[85:86]
	s_mov_b32 s29, 0xbfe14ced
	s_mov_b32 s28, s22
	v_add_f64 v[77:78], v[77:78], v[79:80]
	v_fma_f64 v[79:80], v[119:120], s[14:15], v[91:92]
	v_fma_f64 v[91:92], v[111:112], s[24:25], v[113:114]
	v_mul_f64 v[113:114], v[70:71], s[38:39]
	v_fma_f64 v[121:122], v[68:69], s[24:25], v[93:94]
	v_add_f64 v[52:53], v[52:53], v[85:86]
	v_fma_f64 v[125:126], v[103:104], s[24:25], -v[95:96]
	v_mul_f64 v[85:86], v[64:65], s[28:29]
	v_mul_f64 v[129:130], v[105:106], s[28:29]
	v_fma_f64 v[131:132], v[107:108], s[8:9], -v[123:124]
	v_add_f64 v[117:118], v[28:29], v[20:21]
	v_fma_f64 v[127:128], v[66:67], s[8:9], v[113:114]
	v_add_f64 v[121:122], v[42:43], v[121:122]
	v_add_f64 v[52:53], v[91:92], v[52:53]
	v_fma_f64 v[91:92], v[68:69], s[24:25], -v[93:94]
	v_add_f64 v[125:126], v[40:41], v[125:126]
	v_mul_f64 v[93:94], v[62:63], s[16:17]
	v_fma_f64 v[133:134], v[99:100], s[26:27], v[85:86]
	v_fma_f64 v[113:114], v[66:67], s[8:9], -v[113:114]
	v_mul_f64 v[135:136], v[109:110], s[16:17]
	v_add_f64 v[121:122], v[127:128], v[121:122]
	v_fma_f64 v[144:145], v[111:112], s[26:27], -v[129:130]
	v_add_f64 v[91:92], v[42:43], v[91:92]
	v_add_f64 v[125:126], v[131:132], v[125:126]
	v_mul_f64 v[87:88], v[117:118], s[8:9]
	v_add_f64 v[115:116], v[22:23], -v[30:31]
	v_fma_f64 v[131:132], v[58:59], s[18:19], v[93:94]
	v_fma_f64 v[85:86], v[99:100], s[26:27], -v[85:86]
	v_add_f64 v[121:122], v[133:134], v[121:122]
	v_mul_f64 v[133:134], v[117:118], s[14:15]
	v_add_f64 v[91:92], v[113:114], v[91:92]
	v_add_f64 v[113:114], v[79:80], v[52:53]
	v_fma_f64 v[52:53], v[119:120], s[18:19], -v[135:136]
	v_add_f64 v[79:80], v[144:145], v[125:126]
	s_mov_b32 s31, 0xbfed1bb4
	s_mov_b32 s30, s36
	v_fma_f64 v[81:82], v[115:116], s[38:39], v[87:88]
	v_mul_f64 v[127:128], v[60:61], s[36:37]
	v_add_f64 v[121:122], v[131:132], v[121:122]
	v_fma_f64 v[93:94], v[58:59], s[18:19], -v[93:94]
	v_add_f64 v[85:86], v[85:86], v[91:92]
	v_fma_f64 v[91:92], v[115:116], s[30:31], v[133:134]
	v_add_f64 v[131:132], v[52:53], v[79:80]
	v_fma_f64 v[95:96], v[103:104], s[24:25], v[95:96]
	v_fma_f64 v[87:88], v[115:116], s[10:11], v[87:88]
	;; [unrolled: 1-line block ×3, first 2 shown]
	v_add_f64 v[52:53], v[81:82], v[83:84]
	v_fma_f64 v[127:128], v[56:57], s[14:15], -v[127:128]
	v_add_f64 v[85:86], v[93:94], v[85:86]
	v_add_f64 v[79:80], v[89:90], v[77:78]
	;; [unrolled: 1-line block ×3, first 2 shown]
	v_fma_f64 v[89:90], v[107:108], s[8:9], v[123:124]
	v_mul_f64 v[91:92], v[74:75], s[10:11]
	v_add_f64 v[93:94], v[40:41], v[95:96]
	s_mov_b32 s35, 0x3fd207e7
	s_mov_b32 s34, s16
	v_add_f64 v[77:78], v[87:88], v[113:114]
	v_add_f64 v[83:84], v[125:126], v[121:122]
	;; [unrolled: 1-line block ×3, first 2 shown]
	v_mul_f64 v[85:86], v[70:71], s[34:35]
	v_fma_f64 v[95:96], v[111:112], s[26:27], v[129:130]
	v_mul_f64 v[113:114], v[97:98], s[10:11]
	v_fma_f64 v[121:122], v[68:69], s[8:9], v[91:92]
	v_add_f64 v[89:90], v[89:90], v[93:94]
	v_fma_f64 v[91:92], v[68:69], s[8:9], -v[91:92]
	v_mul_f64 v[123:124], v[64:65], s[36:37]
	v_fma_f64 v[125:126], v[119:120], s[18:19], v[135:136]
	v_fma_f64 v[127:128], v[66:67], s[18:19], v[85:86]
	v_mul_f64 v[129:130], v[101:102], s[34:35]
	v_fma_f64 v[131:132], v[103:104], s[8:9], -v[113:114]
	v_add_f64 v[121:122], v[42:43], v[121:122]
	v_add_f64 v[89:90], v[95:96], v[89:90]
	v_fma_f64 v[85:86], v[66:67], s[18:19], -v[85:86]
	v_add_f64 v[91:92], v[42:43], v[91:92]
	v_fma_f64 v[93:94], v[115:116], s[36:37], v[133:134]
	v_mul_f64 v[95:96], v[62:63], s[28:29]
	v_fma_f64 v[133:134], v[99:100], s[14:15], v[123:124]
	v_mul_f64 v[135:136], v[105:106], s[36:37]
	v_fma_f64 v[144:145], v[107:108], s[18:19], -v[129:130]
	v_add_f64 v[131:132], v[40:41], v[131:132]
	v_add_f64 v[121:122], v[127:128], v[121:122]
	v_mul_f64 v[127:128], v[60:61], s[20:21]
	v_add_f64 v[89:90], v[125:126], v[89:90]
	v_fma_f64 v[123:124], v[99:100], s[14:15], -v[123:124]
	v_add_f64 v[85:86], v[85:86], v[91:92]
	v_fma_f64 v[113:114], v[103:104], s[8:9], v[113:114]
	v_fma_f64 v[146:147], v[58:59], s[26:27], v[95:96]
	v_mul_f64 v[148:149], v[109:110], s[28:29]
	v_fma_f64 v[150:151], v[111:112], s[14:15], -v[135:136]
	v_add_f64 v[131:132], v[144:145], v[131:132]
	v_add_f64 v[121:122], v[133:134], v[121:122]
	v_fma_f64 v[125:126], v[56:57], s[24:25], v[127:128]
	v_fma_f64 v[95:96], v[58:59], s[26:27], -v[95:96]
	v_add_f64 v[123:124], v[123:124], v[85:86]
	v_add_f64 v[85:86], v[93:94], v[89:90]
	v_fma_f64 v[93:94], v[56:57], s[24:25], -v[127:128]
	v_fma_f64 v[127:128], v[107:108], s[18:19], v[129:130]
	v_add_f64 v[113:114], v[40:41], v[113:114]
	v_fma_f64 v[91:92], v[119:120], s[26:27], -v[148:149]
	v_add_f64 v[131:132], v[150:151], v[131:132]
	v_add_f64 v[121:122], v[146:147], v[121:122]
	;; [unrolled: 1-line block ×3, first 2 shown]
	v_fma_f64 v[123:124], v[111:112], s[14:15], v[135:136]
	v_mul_f64 v[133:134], v[117:118], s[24:25]
	v_mul_f64 v[129:130], v[74:75], s[30:31]
	v_add_f64 v[113:114], v[127:128], v[113:114]
	s_mov_b32 s37, 0x3fe82f19
	v_add_f64 v[131:132], v[91:92], v[131:132]
	v_add_f64 v[91:92], v[125:126], v[121:122]
	v_mul_f64 v[121:122], v[97:98], s[30:31]
	v_add_f64 v[95:96], v[93:94], v[95:96]
	v_fma_f64 v[93:94], v[119:120], s[26:27], v[148:149]
	s_mov_b32 s36, s20
	v_add_f64 v[113:114], v[123:124], v[113:114]
	v_add_f64 v[50:51], v[50:51], v[42:43]
	;; [unrolled: 1-line block ×3, first 2 shown]
	v_fma_f64 v[144:145], v[115:116], s[36:37], v[133:134]
	v_mul_f64 v[125:126], v[70:71], s[20:21]
	v_mul_f64 v[127:128], v[101:102], s[20:21]
	v_fma_f64 v[135:136], v[103:104], s[14:15], -v[121:122]
	v_fma_f64 v[123:124], v[115:116], s[20:21], v[133:134]
	v_add_f64 v[93:94], v[93:94], v[113:114]
	v_fma_f64 v[113:114], v[68:69], s[14:15], -v[129:130]
	v_add_f64 v[46:47], v[46:47], v[50:51]
	v_add_f64 v[48:49], v[44:45], v[48:49]
	;; [unrolled: 1-line block ×3, first 2 shown]
	v_mul_f64 v[144:145], v[64:65], s[34:35]
	v_fma_f64 v[146:147], v[66:67], s[24:25], v[125:126]
	v_fma_f64 v[148:149], v[107:108], s[24:25], -v[127:128]
	v_add_f64 v[135:136], v[40:41], v[135:136]
	v_fma_f64 v[125:126], v[66:67], s[24:25], -v[125:126]
	v_add_f64 v[113:114], v[42:43], v[113:114]
	v_add_f64 v[10:11], v[10:11], v[46:47]
	;; [unrolled: 1-line block ×3, first 2 shown]
	v_fma_f64 v[152:153], v[99:100], s[18:19], v[144:145]
	v_fma_f64 v[144:145], v[99:100], s[18:19], -v[144:145]
	v_fma_f64 v[121:122], v[103:104], s[14:15], v[121:122]
	v_add_f64 v[135:136], v[148:149], v[135:136]
	v_mul_f64 v[148:149], v[60:61], s[22:23]
	v_add_f64 v[113:114], v[125:126], v[113:114]
	v_mul_f64 v[74:75], v[74:75], s[28:29]
	v_fma_f64 v[131:132], v[68:69], s[14:15], v[129:130]
	v_add_f64 v[10:11], v[18:19], v[10:11]
	v_add_f64 v[8:9], v[16:17], v[8:9]
	;; [unrolled: 1-line block ×3, first 2 shown]
	v_fma_f64 v[127:128], v[107:108], s[24:25], v[127:128]
	v_fma_f64 v[123:124], v[56:57], s[26:27], v[148:149]
	v_add_f64 v[121:122], v[40:41], v[121:122]
	v_add_f64 v[113:114], v[144:145], v[113:114]
	v_fma_f64 v[144:145], v[56:57], s[26:27], -v[148:149]
	v_mul_f64 v[70:71], v[70:71], s[30:31]
	v_fma_f64 v[148:149], v[68:69], s[26:27], v[74:75]
	v_mul_f64 v[16:17], v[97:98], s[28:29]
	v_add_f64 v[131:132], v[42:43], v[131:132]
	v_mul_f64 v[133:134], v[105:106], s[34:35]
	v_add_f64 v[10:11], v[22:23], v[10:11]
	v_add_f64 v[8:9], v[20:21], v[8:9]
	;; [unrolled: 1-line block ×3, first 2 shown]
	v_mul_f64 v[64:65], v[64:65], s[10:11]
	v_fma_f64 v[50:51], v[66:67], s[14:15], v[70:71]
	v_add_f64 v[127:128], v[42:43], v[148:149]
	v_fma_f64 v[68:69], v[68:69], s[26:27], -v[74:75]
	v_mul_f64 v[74:75], v[101:102], s[30:31]
	v_fma_f64 v[20:21], v[103:104], s[26:27], v[16:17]
	v_mul_f64 v[150:151], v[62:63], s[38:39]
	v_add_f64 v[131:132], v[146:147], v[131:132]
	v_fma_f64 v[146:147], v[111:112], s[18:19], -v[133:134]
	v_fma_f64 v[16:17], v[103:104], s[26:27], -v[16:17]
	v_add_f64 v[10:11], v[30:31], v[10:11]
	v_add_f64 v[8:9], v[28:29], v[8:9]
	v_fma_f64 v[46:47], v[99:100], s[8:9], v[64:65]
	v_add_f64 v[48:49], v[50:51], v[127:128]
	v_mul_f64 v[22:23], v[105:106], s[10:11]
	v_fma_f64 v[66:67], v[66:67], s[14:15], -v[70:71]
	v_add_f64 v[42:43], v[42:43], v[68:69]
	v_fma_f64 v[68:69], v[107:108], s[14:15], v[74:75]
	v_add_f64 v[20:21], v[40:41], v[20:21]
	v_mul_f64 v[129:130], v[109:110], s[38:39]
	v_add_f64 v[135:136], v[146:147], v[135:136]
	v_fma_f64 v[146:147], v[58:59], s[8:9], -v[150:151]
	v_fma_f64 v[133:134], v[111:112], s[18:19], v[133:134]
	v_fma_f64 v[28:29], v[107:108], s[14:15], -v[74:75]
	v_add_f64 v[16:17], v[40:41], v[16:17]
	v_add_f64 v[10:11], v[26:27], v[10:11]
	;; [unrolled: 1-line block ×3, first 2 shown]
	v_mul_f64 v[62:63], v[62:63], s[20:21]
	v_add_f64 v[18:19], v[46:47], v[48:49]
	v_mul_f64 v[48:49], v[109:110], s[20:21]
	v_fma_f64 v[30:31], v[99:100], s[8:9], -v[64:65]
	v_add_f64 v[40:41], v[66:67], v[42:43]
	v_fma_f64 v[42:43], v[111:112], s[8:9], v[22:23]
	v_add_f64 v[20:21], v[68:69], v[20:21]
	v_fma_f64 v[156:157], v[119:120], s[8:9], -v[129:130]
	v_add_f64 v[113:114], v[146:147], v[113:114]
	v_fma_f64 v[129:130], v[119:120], s[8:9], v[129:130]
	v_add_f64 v[121:122], v[133:134], v[121:122]
	v_fma_f64 v[22:23], v[111:112], s[8:9], -v[22:23]
	v_add_f64 v[16:17], v[28:29], v[16:17]
	v_add_f64 v[10:11], v[14:15], v[10:11]
	;; [unrolled: 1-line block ×3, first 2 shown]
	v_mul_f64 v[60:61], v[60:61], s[16:17]
	v_mul_f64 v[46:47], v[117:118], s[18:19]
	v_fma_f64 v[24:25], v[58:59], s[24:25], -v[62:63]
	v_add_f64 v[26:27], v[30:31], v[40:41]
	v_fma_f64 v[28:29], v[119:120], s[24:25], v[48:49]
	v_add_f64 v[12:13], v[42:43], v[20:21]
	v_add_f64 v[131:132], v[152:153], v[131:132]
	v_mul_f64 v[152:153], v[117:118], s[26:27]
	v_fma_f64 v[154:155], v[58:59], s[8:9], v[150:151]
	v_add_f64 v[44:45], v[144:145], v[113:114]
	v_add_f64 v[113:114], v[129:130], v[121:122]
	v_fma_f64 v[121:122], v[58:59], s[24:25], v[62:63]
	v_fma_f64 v[14:15], v[119:120], s[24:25], -v[48:49]
	v_add_f64 v[16:17], v[22:23], v[16:17]
	v_add_f64 v[6:7], v[6:7], v[10:11]
	;; [unrolled: 1-line block ×3, first 2 shown]
	v_fma_f64 v[20:21], v[56:57], s[18:19], -v[60:61]
	v_add_f64 v[22:23], v[24:25], v[26:27]
	v_fma_f64 v[24:25], v[115:116], s[16:17], v[46:47]
	v_add_f64 v[12:13], v[28:29], v[12:13]
	v_fma_f64 v[50:51], v[115:116], s[22:23], v[152:153]
	;; [unrolled: 2-line block ×5, first 2 shown]
	v_add_f64 v[14:15], v[14:15], v[16:17]
	v_add_f64 v[8:9], v[6:7], v[2:3]
	;; [unrolled: 1-line block ×6, first 2 shown]
	v_lshl_add_u32 v0, v143, 4, v142
	v_add_f64 v[12:13], v[123:124], v[125:126]
	v_add_f64 v[10:11], v[131:132], v[135:136]
	v_add_f64 v[16:17], v[26:27], v[18:19]
	v_add_f64 v[14:15], v[28:29], v[14:15]
	ds_write_b128 v0, v[6:9]
	ds_write_b128 v0, v[2:5] offset:16
	ds_write_b128 v0, v[42:45] offset:32
	;; [unrolled: 1-line block ×10, first 2 shown]
.LBB0_13:
	s_or_b64 exec, exec, s[4:5]
	s_waitcnt lgkmcnt(0)
	s_barrier
	ds_read_b128 v[0:3], v73 offset:176
	ds_read_b128 v[4:7], v73 offset:352
	s_mov_b32 s4, 0xe8584caa
	s_mov_b32 s5, 0xbfebb67a
	;; [unrolled: 1-line block ×3, first 2 shown]
	s_waitcnt lgkmcnt(1)
	v_mul_f64 v[8:9], v[38:39], v[2:3]
	v_mul_f64 v[10:11], v[38:39], v[0:1]
	s_waitcnt lgkmcnt(0)
	v_mul_f64 v[12:13], v[34:35], v[6:7]
	v_mul_f64 v[14:15], v[34:35], v[4:5]
	s_mov_b32 s8, s4
	v_fma_f64 v[8:9], v[36:37], v[0:1], v[8:9]
	v_fma_f64 v[10:11], v[36:37], v[2:3], -v[10:11]
	v_fma_f64 v[4:5], v[32:33], v[4:5], v[12:13]
	v_fma_f64 v[6:7], v[32:33], v[6:7], -v[14:15]
	ds_read_b128 v[0:3], v73
	s_waitcnt lgkmcnt(0)
	v_add_f64 v[16:17], v[0:1], v[8:9]
	v_add_f64 v[12:13], v[8:9], v[4:5]
	v_add_f64 v[14:15], v[10:11], v[6:7]
	v_add_f64 v[18:19], v[10:11], -v[6:7]
	v_add_f64 v[10:11], v[2:3], v[10:11]
	v_add_f64 v[20:21], v[8:9], -v[4:5]
	v_fma_f64 v[8:9], v[12:13], -0.5, v[0:1]
	v_fma_f64 v[12:13], v[14:15], -0.5, v[2:3]
	v_add_f64 v[0:1], v[16:17], v[4:5]
	v_add_f64 v[2:3], v[10:11], v[6:7]
	v_fma_f64 v[4:5], v[18:19], s[4:5], v[8:9]
	v_fma_f64 v[6:7], v[20:21], s[8:9], v[12:13]
	;; [unrolled: 1-line block ×4, first 2 shown]
	ds_write_b128 v72, v[0:3]
	ds_write_b128 v72, v[4:7] offset:176
	ds_write_b128 v72, v[8:11] offset:352
	s_waitcnt lgkmcnt(0)
	s_barrier
	s_and_b64 exec, exec, vcc
	s_cbranch_execz .LBB0_15
; %bb.14:
	global_load_dwordx4 v[0:3], v140, s[12:13]
	global_load_dwordx4 v[4:7], v140, s[12:13] offset:48
	global_load_dwordx4 v[8:11], v140, s[12:13] offset:96
	;; [unrolled: 1-line block ×10, first 2 shown]
	v_mad_u64_u32 v[68:69], s[4:5], s2, v76, 0
	v_mad_u64_u32 v[70:71], s[8:9], s0, v138, 0
	v_mad_u64_u32 v[73:74], s[10:11], s0, v139, 0
	v_mov_b32_e32 v78, s7
	s_mul_i32 s7, s1, 48
	s_mul_hi_u32 s8, s0, 48
	v_lshl_add_u32 v89, v141, 4, v140
	ds_read_b128 v[44:47], v72
	ds_read_b128 v[48:51], v89 offset:48
	s_add_i32 s10, s8, s7
	v_mov_b32_e32 v72, v74
	v_mad_u64_u32 v[74:75], s[8:9], s3, v76, v[69:70]
	v_mad_u64_u32 v[75:76], s[8:9], s1, v138, v[71:72]
	v_mov_b32_e32 v69, v74
	v_lshlrev_b64 v[68:69], 4, v[68:69]
	v_mov_b32_e32 v71, v75
	v_lshlrev_b64 v[70:71], 4, v[70:71]
	v_add_co_u32_e32 v90, vcc, s6, v68
	v_addc_co_u32_e32 v91, vcc, v78, v69, vcc
	v_add_co_u32_e32 v68, vcc, v90, v70
	s_mul_i32 s2, s0, 48
	v_mad_u64_u32 v[76:77], s[8:9], s1, v139, v[72:73]
	v_addc_co_u32_e32 v69, vcc, v91, v71, vcc
	v_mov_b32_e32 v79, s10
	v_add_co_u32_e32 v70, vcc, s2, v68
	v_addc_co_u32_e32 v71, vcc, v69, v79, vcc
	v_mov_b32_e32 v80, s10
	v_add_co_u32_e32 v75, vcc, s2, v70
	ds_read_b128 v[52:55], v89 offset:96
	ds_read_b128 v[56:59], v89 offset:144
	;; [unrolled: 1-line block ×4, first 2 shown]
	v_mov_b32_e32 v74, v76
	v_addc_co_u32_e32 v76, vcc, v71, v80, vcc
	s_mov_b32 s4, 0xf07c1f08
	s_mov_b32 s5, 0x3f9f07c1
	v_mov_b32_e32 v72, s10
	v_add_co_u32_e32 v77, vcc, s2, v75
	v_addc_co_u32_e32 v78, vcc, v76, v72, vcc
	s_mul_i32 s3, s1, 0x60
	s_waitcnt vmcnt(10) lgkmcnt(5)
	v_mul_f64 v[79:80], v[46:47], v[2:3]
	v_mul_f64 v[2:3], v[44:45], v[2:3]
	s_waitcnt vmcnt(9) lgkmcnt(4)
	v_mul_f64 v[81:82], v[50:51], v[6:7]
	v_mul_f64 v[6:7], v[48:49], v[6:7]
	s_waitcnt vmcnt(8) lgkmcnt(3)
	v_mul_f64 v[83:84], v[54:55], v[10:11]
	v_mul_f64 v[10:11], v[52:53], v[10:11]
	s_waitcnt vmcnt(7) lgkmcnt(2)
	v_mul_f64 v[85:86], v[58:59], v[14:15]
	v_mul_f64 v[14:15], v[56:57], v[14:15]
	v_fma_f64 v[44:45], v[44:45], v[0:1], v[79:80]
	v_fma_f64 v[2:3], v[0:1], v[46:47], -v[2:3]
	v_fma_f64 v[46:47], v[48:49], v[4:5], v[81:82]
	v_fma_f64 v[6:7], v[4:5], v[50:51], -v[6:7]
	;; [unrolled: 2-line block ×4, first 2 shown]
	v_mul_f64 v[0:1], v[44:45], s[4:5]
	v_mul_f64 v[2:3], v[2:3], s[4:5]
	;; [unrolled: 1-line block ×8, first 2 shown]
	s_waitcnt vmcnt(6) lgkmcnt(1)
	v_mul_f64 v[87:88], v[62:63], v[18:19]
	v_mul_f64 v[18:19], v[60:61], v[18:19]
	s_waitcnt vmcnt(5) lgkmcnt(0)
	v_mul_f64 v[44:45], v[66:67], v[22:23]
	v_mul_f64 v[22:23], v[64:65], v[22:23]
	global_store_dwordx4 v[68:69], v[0:3], off
	global_store_dwordx4 v[70:71], v[4:7], off
	;; [unrolled: 1-line block ×4, first 2 shown]
	ds_read_b128 v[0:3], v89 offset:288
	ds_read_b128 v[4:7], v89 offset:336
	v_lshlrev_b64 v[8:9], 4, v[73:74]
	v_fma_f64 v[52:53], v[60:61], v[16:17], v[87:88]
	v_fma_f64 v[18:19], v[16:17], v[62:63], -v[18:19]
	v_fma_f64 v[10:11], v[64:65], v[20:21], v[44:45]
	v_fma_f64 v[12:13], v[20:21], v[66:67], -v[22:23]
	s_waitcnt vmcnt(8) lgkmcnt(1)
	v_mul_f64 v[14:15], v[2:3], v[26:27]
	v_mul_f64 v[20:21], v[0:1], v[26:27]
	v_add_co_u32_e32 v8, vcc, v90, v8
	v_mul_f64 v[16:17], v[52:53], s[4:5]
	v_mul_f64 v[18:19], v[18:19], s[4:5]
	v_addc_co_u32_e32 v9, vcc, v91, v9, vcc
	v_fma_f64 v[0:1], v[0:1], v[24:25], v[14:15]
	v_fma_f64 v[2:3], v[24:25], v[2:3], -v[20:21]
	v_mov_b32_e32 v26, 0x60
	s_waitcnt vmcnt(7) lgkmcnt(0)
	v_mul_f64 v[14:15], v[6:7], v[30:31]
	global_store_dwordx4 v[8:9], v[16:19], off
	v_mul_f64 v[8:9], v[10:11], s[4:5]
	v_mul_f64 v[10:11], v[12:13], s[4:5]
	v_mul_f64 v[0:1], v[0:1], s[4:5]
	v_mul_f64 v[2:3], v[2:3], s[4:5]
	v_mad_u64_u32 v[12:13], s[6:7], s0, v26, v[77:78]
	v_mul_f64 v[16:17], v[4:5], v[30:31]
	v_fma_f64 v[4:5], v[4:5], v[28:29], v[14:15]
	v_add_u32_e32 v13, s3, v13
	global_store_dwordx4 v[12:13], v[8:11], off
	v_add_co_u32_e32 v12, vcc, s2, v12
	v_mov_b32_e32 v8, s10
	v_addc_co_u32_e32 v13, vcc, v13, v8, vcc
	global_store_dwordx4 v[12:13], v[0:3], off
	ds_read_b128 v[0:3], v89 offset:384
	ds_read_b128 v[8:11], v89 offset:432
	v_fma_f64 v[6:7], v[28:29], v[6:7], -v[16:17]
	v_mul_f64 v[4:5], v[4:5], s[4:5]
	v_mov_b32_e32 v18, s10
	s_waitcnt vmcnt(9) lgkmcnt(1)
	v_mul_f64 v[14:15], v[2:3], v[34:35]
	v_mul_f64 v[16:17], v[0:1], v[34:35]
	v_add_co_u32_e32 v12, vcc, s2, v12
	v_addc_co_u32_e32 v13, vcc, v13, v18, vcc
	v_mul_f64 v[6:7], v[6:7], s[4:5]
	v_mad_u64_u32 v[18:19], s[6:7], s0, v137, 0
	v_fma_f64 v[14:15], v[0:1], v[32:33], v[14:15]
	v_fma_f64 v[16:17], v[32:33], v[2:3], -v[16:17]
	ds_read_b128 v[0:3], v89 offset:480
	v_mad_u64_u32 v[19:20], s[6:7], s1, v137, v[19:20]
	global_store_dwordx4 v[12:13], v[4:7], off
	v_mad_u64_u32 v[12:13], s[0:1], s0, v26, v[12:13]
	s_waitcnt vmcnt(9) lgkmcnt(1)
	v_mul_f64 v[4:5], v[10:11], v[38:39]
	v_mul_f64 v[6:7], v[8:9], v[38:39]
	s_waitcnt vmcnt(8) lgkmcnt(0)
	v_mul_f64 v[20:21], v[2:3], v[42:43]
	v_mul_f64 v[22:23], v[0:1], v[42:43]
	v_add_u32_e32 v13, s3, v13
	v_fma_f64 v[8:9], v[8:9], v[36:37], v[4:5]
	v_fma_f64 v[10:11], v[36:37], v[10:11], -v[6:7]
	v_fma_f64 v[0:1], v[0:1], v[40:41], v[20:21]
	v_fma_f64 v[2:3], v[40:41], v[2:3], -v[22:23]
	v_mul_f64 v[4:5], v[14:15], s[4:5]
	v_mul_f64 v[6:7], v[16:17], s[4:5]
	v_lshlrev_b64 v[14:15], 4, v[18:19]
	v_mul_f64 v[8:9], v[8:9], s[4:5]
	v_mul_f64 v[10:11], v[10:11], s[4:5]
	;; [unrolled: 1-line block ×4, first 2 shown]
	v_add_co_u32_e32 v14, vcc, v90, v14
	v_addc_co_u32_e32 v15, vcc, v91, v15, vcc
	global_store_dwordx4 v[14:15], v[4:7], off
	global_store_dwordx4 v[12:13], v[8:11], off
	v_mov_b32_e32 v5, s10
	v_add_co_u32_e32 v4, vcc, s2, v12
	v_addc_co_u32_e32 v5, vcc, v13, v5, vcc
	global_store_dwordx4 v[4:5], v[0:3], off
.LBB0_15:
	s_endpgm
	.section	.rodata,"a",@progbits
	.p2align	6, 0x0
	.amdhsa_kernel bluestein_single_fwd_len33_dim1_dp_op_CI_CI
		.amdhsa_group_segment_fixed_size 12144
		.amdhsa_private_segment_fixed_size 0
		.amdhsa_kernarg_size 104
		.amdhsa_user_sgpr_count 6
		.amdhsa_user_sgpr_private_segment_buffer 1
		.amdhsa_user_sgpr_dispatch_ptr 0
		.amdhsa_user_sgpr_queue_ptr 0
		.amdhsa_user_sgpr_kernarg_segment_ptr 1
		.amdhsa_user_sgpr_dispatch_id 0
		.amdhsa_user_sgpr_flat_scratch_init 0
		.amdhsa_user_sgpr_private_segment_size 0
		.amdhsa_uses_dynamic_stack 0
		.amdhsa_system_sgpr_private_segment_wavefront_offset 0
		.amdhsa_system_sgpr_workgroup_id_x 1
		.amdhsa_system_sgpr_workgroup_id_y 0
		.amdhsa_system_sgpr_workgroup_id_z 0
		.amdhsa_system_sgpr_workgroup_info 0
		.amdhsa_system_vgpr_workitem_id 0
		.amdhsa_next_free_vgpr 177
		.amdhsa_next_free_sgpr 40
		.amdhsa_reserve_vcc 1
		.amdhsa_reserve_flat_scratch 0
		.amdhsa_float_round_mode_32 0
		.amdhsa_float_round_mode_16_64 0
		.amdhsa_float_denorm_mode_32 3
		.amdhsa_float_denorm_mode_16_64 3
		.amdhsa_dx10_clamp 1
		.amdhsa_ieee_mode 1
		.amdhsa_fp16_overflow 0
		.amdhsa_exception_fp_ieee_invalid_op 0
		.amdhsa_exception_fp_denorm_src 0
		.amdhsa_exception_fp_ieee_div_zero 0
		.amdhsa_exception_fp_ieee_overflow 0
		.amdhsa_exception_fp_ieee_underflow 0
		.amdhsa_exception_fp_ieee_inexact 0
		.amdhsa_exception_int_div_zero 0
	.end_amdhsa_kernel
	.text
.Lfunc_end0:
	.size	bluestein_single_fwd_len33_dim1_dp_op_CI_CI, .Lfunc_end0-bluestein_single_fwd_len33_dim1_dp_op_CI_CI
                                        ; -- End function
	.section	.AMDGPU.csdata,"",@progbits
; Kernel info:
; codeLenInByte = 9352
; NumSgprs: 44
; NumVgprs: 177
; ScratchSize: 0
; MemoryBound: 0
; FloatMode: 240
; IeeeMode: 1
; LDSByteSize: 12144 bytes/workgroup (compile time only)
; SGPRBlocks: 5
; VGPRBlocks: 44
; NumSGPRsForWavesPerEU: 44
; NumVGPRsForWavesPerEU: 177
; Occupancy: 1
; WaveLimiterHint : 1
; COMPUTE_PGM_RSRC2:SCRATCH_EN: 0
; COMPUTE_PGM_RSRC2:USER_SGPR: 6
; COMPUTE_PGM_RSRC2:TRAP_HANDLER: 0
; COMPUTE_PGM_RSRC2:TGID_X_EN: 1
; COMPUTE_PGM_RSRC2:TGID_Y_EN: 0
; COMPUTE_PGM_RSRC2:TGID_Z_EN: 0
; COMPUTE_PGM_RSRC2:TIDIG_COMP_CNT: 0
	.type	__hip_cuid_4d663f76f55b8865,@object ; @__hip_cuid_4d663f76f55b8865
	.section	.bss,"aw",@nobits
	.globl	__hip_cuid_4d663f76f55b8865
__hip_cuid_4d663f76f55b8865:
	.byte	0                               ; 0x0
	.size	__hip_cuid_4d663f76f55b8865, 1

	.ident	"AMD clang version 19.0.0git (https://github.com/RadeonOpenCompute/llvm-project roc-6.4.0 25133 c7fe45cf4b819c5991fe208aaa96edf142730f1d)"
	.section	".note.GNU-stack","",@progbits
	.addrsig
	.addrsig_sym __hip_cuid_4d663f76f55b8865
	.amdgpu_metadata
---
amdhsa.kernels:
  - .args:
      - .actual_access:  read_only
        .address_space:  global
        .offset:         0
        .size:           8
        .value_kind:     global_buffer
      - .actual_access:  read_only
        .address_space:  global
        .offset:         8
        .size:           8
        .value_kind:     global_buffer
      - .actual_access:  read_only
        .address_space:  global
        .offset:         16
        .size:           8
        .value_kind:     global_buffer
      - .actual_access:  read_only
        .address_space:  global
        .offset:         24
        .size:           8
        .value_kind:     global_buffer
      - .actual_access:  read_only
        .address_space:  global
        .offset:         32
        .size:           8
        .value_kind:     global_buffer
      - .offset:         40
        .size:           8
        .value_kind:     by_value
      - .address_space:  global
        .offset:         48
        .size:           8
        .value_kind:     global_buffer
      - .address_space:  global
        .offset:         56
        .size:           8
        .value_kind:     global_buffer
      - .address_space:  global
        .offset:         64
        .size:           8
        .value_kind:     global_buffer
      - .address_space:  global
        .offset:         72
        .size:           8
        .value_kind:     global_buffer
      - .offset:         80
        .size:           4
        .value_kind:     by_value
      - .address_space:  global
        .offset:         88
        .size:           8
        .value_kind:     global_buffer
      - .address_space:  global
        .offset:         96
        .size:           8
        .value_kind:     global_buffer
    .group_segment_fixed_size: 12144
    .kernarg_segment_align: 8
    .kernarg_segment_size: 104
    .language:       OpenCL C
    .language_version:
      - 2
      - 0
    .max_flat_workgroup_size: 253
    .name:           bluestein_single_fwd_len33_dim1_dp_op_CI_CI
    .private_segment_fixed_size: 0
    .sgpr_count:     44
    .sgpr_spill_count: 0
    .symbol:         bluestein_single_fwd_len33_dim1_dp_op_CI_CI.kd
    .uniform_work_group_size: 1
    .uses_dynamic_stack: false
    .vgpr_count:     177
    .vgpr_spill_count: 0
    .wavefront_size: 64
amdhsa.target:   amdgcn-amd-amdhsa--gfx906
amdhsa.version:
  - 1
  - 2
...

	.end_amdgpu_metadata
